;; amdgpu-corpus repo=zjin-lcf/HeCBench kind=compiled arch=gfx906 opt=O3
	.amdgcn_target "amdgcn-amd-amdhsa--gfx906"
	.amdhsa_code_object_version 6
	.text
	.protected	_Z9get_block15HIP_vector_typeIjLj2EEPKhPKtPKjPfS0_S0_6Params ; -- Begin function _Z9get_block15HIP_vector_typeIjLj2EEPKhPKtPKjPfS0_S0_6Params
	.globl	_Z9get_block15HIP_vector_typeIjLj2EEPKhPKtPKjPfS0_S0_6Params
	.p2align	8
	.type	_Z9get_block15HIP_vector_typeIjLj2EEPKhPKtPKjPfS0_S0_6Params,@function
_Z9get_block15HIP_vector_typeIjLj2EEPKhPKtPKjPfS0_S0_6Params: ; @_Z9get_block15HIP_vector_typeIjLj2EEPKhPKtPKjPfS0_S0_6Params
; %bb.0:
	s_load_dword s9, s[4:5], 0x4c
	s_load_dwordx2 s[0:1], s[4:5], 0x0
	s_load_dwordx2 s[2:3], s[4:5], 0x30
	s_waitcnt lgkmcnt(0)
	s_mul_i32 s8, s9, s6
	s_add_i32 s0, s8, s0
	s_mul_i32 s8, s9, s7
	s_add_i32 s8, s8, s1
	s_add_i32 s1, s3, -1
	s_add_i32 s10, s1, s9
	s_cmp_lt_u32 s8, s10
	s_cselect_b32 s1, s1, s8
	s_cmp_lt_u32 s8, s3
	s_cselect_b32 s8, s8, s1
	s_add_i32 s1, s2, -1
	s_add_i32 s9, s1, s9
	s_cmp_lt_u32 s0, s9
	s_cselect_b32 s1, s1, s0
	s_cmp_lt_u32 s0, s2
	s_cselect_b32 s9, s0, s1
	s_cmp_ge_u32 s9, s2
	s_cselect_b64 s[0:1], -1, 0
	s_cmp_ge_u32 s8, s3
	s_cselect_b64 s[2:3], -1, 0
	s_or_b64 s[0:1], s[0:1], s[2:3]
	s_and_b64 vcc, exec, s[0:1]
	s_cbranch_vccnz .LBB0_4
; %bb.1:
	s_load_dwordx2 s[0:1], s[4:5], 0x8
	s_load_dword s12, s[4:5], 0x28
	s_load_dwordx2 s[2:3], s[4:5], 0x3c
	s_load_dword s10, s[4:5], 0x58
	v_add_u32_e32 v2, s9, v0
	v_add_u32_e32 v5, s8, v1
	s_waitcnt lgkmcnt(0)
	v_mad_u64_u32 v[3:4], s[8:9], v5, s12, v[2:3]
	s_load_dwordx4 s[16:19], s[4:5], 0x18
	s_mul_i32 s8, s10, s7
	global_load_ubyte v8, v3, s[0:1]
	s_mul_i32 s7, s2, s2
	s_add_i32 s13, s3, 1
	s_add_i32 s10, s8, s6
	s_mul_i32 s6, s7, s13
	s_mov_b32 s9, 0
	v_mad_u64_u32 v[3:4], s[14:15], s2, v1, v[0:1]
	s_mul_i32 s8, s6, s10
	s_lshl_b64 s[14:15], s[8:9], 2
	s_mov_b32 s11, s9
	s_waitcnt lgkmcnt(0)
	s_add_u32 s6, s18, s14
	s_addc_u32 s13, s19, s15
	s_lshl_b64 s[14:15], s[10:11], 2
	s_add_u32 s14, s16, s14
	s_addc_u32 s15, s17, s15
	s_load_dword s11, s[14:15], 0x0
	v_mov_b32_e32 v4, 0
	v_lshlrev_b64 v[6:7], 2, v[3:4]
	v_mov_b32_e32 v3, s13
	v_add_co_u32_e32 v6, vcc, s6, v6
	v_addc_co_u32_e32 v7, vcc, v3, v7, vcc
	s_waitcnt lgkmcnt(0)
	s_cmp_eq_u32 s11, 0
	s_waitcnt vmcnt(0)
	v_cvt_f32_ubyte0_e32 v3, v8
	global_store_dword v[6:7], v3, off
	s_cbranch_scc1 .LBB0_4
; %bb.2:
	s_load_dwordx2 s[4:5], s[4:5], 0x10
	v_add_u32_e32 v1, s2, v1
	s_mul_i32 s8, s10, s3
	v_mad_u64_u32 v[6:7], s[2:3], s2, v1, v[0:1]
	s_lshl_b64 s[8:9], s[8:9], 1
	s_waitcnt lgkmcnt(0)
	s_add_u32 s2, s4, s8
	s_addc_u32 s3, s5, s9
	v_mov_b32_e32 v0, s13
	v_mov_b32_e32 v3, v6
.LBB0_3:                                ; =>This Inner Loop Header: Depth=1
	global_load_ushort v1, v4, s[2:3]
	s_add_i32 s11, s11, -1
	s_add_u32 s2, s2, 2
	s_addc_u32 s3, s3, 0
	s_cmp_lg_u32 s11, 0
	s_waitcnt vmcnt(0)
	v_add_u32_sdwa v6, v5, sext(v1) dst_sel:DWORD dst_unused:UNUSED_PAD src0_sel:DWORD src1_sel:BYTE_1
	v_mul_lo_u32 v6, v6, s12
	v_bfe_i32 v1, v1, 0, 8
	v_add3_u32 v1, v2, v1, v6
	global_load_ubyte v1, v1, s[0:1]
	v_lshlrev_b64 v[6:7], 2, v[3:4]
	v_add_u32_e32 v3, s7, v3
	v_add_co_u32_e32 v6, vcc, s6, v6
	v_addc_co_u32_e32 v7, vcc, v0, v7, vcc
	s_waitcnt vmcnt(0)
	v_cvt_f32_ubyte0_e32 v1, v1
	global_store_dword v[6:7], v1, off
	s_cbranch_scc1 .LBB0_3
.LBB0_4:
	s_endpgm
	.section	.rodata,"a",@progbits
	.p2align	6, 0x0
	.amdhsa_kernel _Z9get_block15HIP_vector_typeIjLj2EEPKhPKtPKjPfS0_S0_6Params
		.amdhsa_group_segment_fixed_size 0
		.amdhsa_private_segment_fixed_size 0
		.amdhsa_kernarg_size 344
		.amdhsa_user_sgpr_count 6
		.amdhsa_user_sgpr_private_segment_buffer 1
		.amdhsa_user_sgpr_dispatch_ptr 0
		.amdhsa_user_sgpr_queue_ptr 0
		.amdhsa_user_sgpr_kernarg_segment_ptr 1
		.amdhsa_user_sgpr_dispatch_id 0
		.amdhsa_user_sgpr_flat_scratch_init 0
		.amdhsa_user_sgpr_private_segment_size 0
		.amdhsa_uses_dynamic_stack 0
		.amdhsa_system_sgpr_private_segment_wavefront_offset 0
		.amdhsa_system_sgpr_workgroup_id_x 1
		.amdhsa_system_sgpr_workgroup_id_y 1
		.amdhsa_system_sgpr_workgroup_id_z 0
		.amdhsa_system_sgpr_workgroup_info 0
		.amdhsa_system_vgpr_workitem_id 1
		.amdhsa_next_free_vgpr 9
		.amdhsa_next_free_sgpr 20
		.amdhsa_reserve_vcc 1
		.amdhsa_reserve_flat_scratch 0
		.amdhsa_float_round_mode_32 0
		.amdhsa_float_round_mode_16_64 0
		.amdhsa_float_denorm_mode_32 3
		.amdhsa_float_denorm_mode_16_64 3
		.amdhsa_dx10_clamp 1
		.amdhsa_ieee_mode 1
		.amdhsa_fp16_overflow 0
		.amdhsa_exception_fp_ieee_invalid_op 0
		.amdhsa_exception_fp_denorm_src 0
		.amdhsa_exception_fp_ieee_div_zero 0
		.amdhsa_exception_fp_ieee_overflow 0
		.amdhsa_exception_fp_ieee_underflow 0
		.amdhsa_exception_fp_ieee_inexact 0
		.amdhsa_exception_int_div_zero 0
	.end_amdhsa_kernel
	.text
.Lfunc_end0:
	.size	_Z9get_block15HIP_vector_typeIjLj2EEPKhPKtPKjPfS0_S0_6Params, .Lfunc_end0-_Z9get_block15HIP_vector_typeIjLj2EEPKhPKtPKjPfS0_S0_6Params
                                        ; -- End function
	.set _Z9get_block15HIP_vector_typeIjLj2EEPKhPKtPKjPfS0_S0_6Params.num_vgpr, 9
	.set _Z9get_block15HIP_vector_typeIjLj2EEPKhPKtPKjPfS0_S0_6Params.num_agpr, 0
	.set _Z9get_block15HIP_vector_typeIjLj2EEPKhPKtPKjPfS0_S0_6Params.numbered_sgpr, 20
	.set _Z9get_block15HIP_vector_typeIjLj2EEPKhPKtPKjPfS0_S0_6Params.num_named_barrier, 0
	.set _Z9get_block15HIP_vector_typeIjLj2EEPKhPKtPKjPfS0_S0_6Params.private_seg_size, 0
	.set _Z9get_block15HIP_vector_typeIjLj2EEPKhPKtPKjPfS0_S0_6Params.uses_vcc, 1
	.set _Z9get_block15HIP_vector_typeIjLj2EEPKhPKtPKjPfS0_S0_6Params.uses_flat_scratch, 0
	.set _Z9get_block15HIP_vector_typeIjLj2EEPKhPKtPKjPfS0_S0_6Params.has_dyn_sized_stack, 0
	.set _Z9get_block15HIP_vector_typeIjLj2EEPKhPKtPKjPfS0_S0_6Params.has_recursion, 0
	.set _Z9get_block15HIP_vector_typeIjLj2EEPKhPKtPKjPfS0_S0_6Params.has_indirect_call, 0
	.section	.AMDGPU.csdata,"",@progbits
; Kernel info:
; codeLenInByte = 476
; TotalNumSgprs: 24
; NumVgprs: 9
; ScratchSize: 0
; MemoryBound: 0
; FloatMode: 240
; IeeeMode: 1
; LDSByteSize: 0 bytes/workgroup (compile time only)
; SGPRBlocks: 2
; VGPRBlocks: 2
; NumSGPRsForWavesPerEU: 24
; NumVGPRsForWavesPerEU: 9
; Occupancy: 10
; WaveLimiterHint : 1
; COMPUTE_PGM_RSRC2:SCRATCH_EN: 0
; COMPUTE_PGM_RSRC2:USER_SGPR: 6
; COMPUTE_PGM_RSRC2:TRAP_HANDLER: 0
; COMPUTE_PGM_RSRC2:TGID_X_EN: 1
; COMPUTE_PGM_RSRC2:TGID_Y_EN: 1
; COMPUTE_PGM_RSRC2:TGID_Z_EN: 0
; COMPUTE_PGM_RSRC2:TIDIG_COMP_CNT: 1
	.text
	.protected	_Z19hard_treshold_block15HIP_vector_typeIjLj2EEPfS1_PKjS0_6Paramsj ; -- Begin function _Z19hard_treshold_block15HIP_vector_typeIjLj2EEPfS1_PKjS0_6Paramsj
	.globl	_Z19hard_treshold_block15HIP_vector_typeIjLj2EEPfS1_PKjS0_6Paramsj
	.p2align	8
	.type	_Z19hard_treshold_block15HIP_vector_typeIjLj2EEPfS1_PKjS0_6Paramsj,@function
_Z19hard_treshold_block15HIP_vector_typeIjLj2EEPfS1_PKjS0_6Paramsj: ; @_Z19hard_treshold_block15HIP_vector_typeIjLj2EEPfS1_PKjS0_6Paramsj
; %bb.0:
	s_load_dwordx4 s[8:11], s[4:5], 0x3c
	s_load_dwordx2 s[0:1], s[4:5], 0x0
	s_load_dwordx2 s[2:3], s[4:5], 0x20
	s_waitcnt lgkmcnt(0)
	s_mul_i32 s11, s8, s6
	s_add_i32 s11, s11, s0
	s_mul_i32 s0, s8, s7
	s_add_i32 s12, s0, s1
	s_add_i32 s0, s3, -1
	s_add_i32 s1, s0, s8
	s_cmp_lt_u32 s12, s1
	s_cselect_b32 s13, s0, s12
	s_add_i32 s0, s2, -1
	s_add_i32 s1, s0, s8
	s_cmp_lt_u32 s11, s1
	s_cselect_b32 s0, s0, s11
	s_min_u32 s0, s11, s0
	s_cmp_lt_u32 s0, s2
	s_cselect_b64 s[0:1], -1, 0
	s_min_u32 s2, s12, s13
	s_cmp_lt_u32 s2, s3
	s_cselect_b64 s[2:3], -1, 0
	s_and_b64 s[0:1], s[0:1], s[2:3]
	s_andn2_b64 vcc, exec, s[0:1]
	s_cbranch_vccnz .LBB1_36
; %bb.1:
	s_load_dword s0, s[4:5], 0x54
	s_load_dwordx2 s[14:15], s[4:5], 0x8
	s_load_dword s1, s[4:5], 0x48
	s_load_dwordx2 s[2:3], s[4:5], 0x18
	s_load_dword s8, s[4:5], 0x30
	s_waitcnt lgkmcnt(0)
	s_lshr_b32 s11, s0, 16
	s_and_b32 s12, s0, 0xffff
	s_mul_i32 s0, s1, s7
	s_add_i32 s0, s0, s6
	s_mov_b32 s1, 0
	s_add_i32 s13, s8, 1
	s_lshl_b64 s[6:7], s[0:1], 2
	s_add_u32 s2, s2, s6
	s_addc_u32 s3, s3, s7
	s_load_dword s2, s[2:3], 0x0
	s_mul_i32 s8, s11, s12
	s_mul_i32 s3, s13, s8
	v_mad_u32_u24 v0, v1, s12, v0
	s_mul_i32 s16, s3, s0
	s_waitcnt lgkmcnt(0)
	v_add_co_u32_e64 v2, s[12:13], s2, 1
	s_mov_b32 s17, s1
	s_add_i32 s0, s2, 2
	s_xor_b64 s[2:3], s[12:13], -1
	s_lshl_b64 s[16:17], s[16:17], 2
	v_mul_lo_u32 v1, s0, v0
	s_add_u32 s0, s14, s16
	v_readfirstlane_b32 s11, v2
	s_addc_u32 s14, s15, s17
	v_lshlrev_b32_e32 v2, 2, v0
	v_mov_b32_e32 v3, s14
	v_add_co_u32_e32 v2, vcc, s0, v2
	v_addc_co_u32_e32 v3, vcc, 0, v3, vcc
	v_lshl_add_u32 v1, v1, 2, 0
	s_and_b64 vcc, exec, s[12:13]
	s_cbranch_vccnz .LBB1_4
; %bb.2:
	v_mov_b32_e32 v4, v1
	s_mov_b32 s0, s1
	s_mov_b32 s14, s11
.LBB1_3:                                ; =>This Inner Loop Header: Depth=1
	s_lshl_b64 s[16:17], s[0:1], 2
	v_mov_b32_e32 v6, s17
	v_add_co_u32_e32 v5, vcc, s16, v2
	v_addc_co_u32_e32 v6, vcc, v3, v6, vcc
	global_load_dword v5, v[5:6], off
	s_add_i32 s14, s14, -1
	s_add_i32 s0, s0, s8
	s_cmp_eq_u32 s14, 0
	s_waitcnt vmcnt(0)
	ds_write_b32 v4, v5
	v_add_u32_e32 v4, 4, v4
	s_cbranch_scc0 .LBB1_3
.LBB1_4:
	s_flbit_i32_b32 s0, s11
	s_xor_b32 s14, s0, 31
	s_and_b64 s[0:1], exec, s[12:13]
	s_cselect_b32 s14, -1, s14
	s_cmp_lg_u32 s14, 0
	v_cndmask_b32_e64 v4, 0, 1, s[2:3]
	s_cselect_b64 s[12:13], -1, 0
	s_cmp_eq_u32 s14, 0
	v_cmp_ne_u32_e64 s[0:1], 1, v4
	s_cbranch_scc1 .LBB1_12
; %bb.5:
	s_mov_b32 s2, 0
	s_branch .LBB1_7
.LBB1_6:                                ;   in Loop: Header=BB1_7 Depth=1
	s_add_i32 s2, s2, 1
	s_cmp_eq_u32 s2, s14
	s_cbranch_scc1 .LBB1_12
.LBB1_7:                                ; =>This Loop Header: Depth=1
                                        ;     Child Loop BB1_9 Depth 2
                                        ;       Child Loop BB1_10 Depth 3
	s_and_b64 vcc, exec, s[0:1]
	s_cbranch_vccnz .LBB1_6
; %bb.8:                                ;   in Loop: Header=BB1_7 Depth=1
	s_lshl_b32 s3, 1, s2
	s_lshl_b32 s15, 2, s2
	;; [unrolled: 1-line block ×4, first 2 shown]
	s_mov_b32 s18, 0
	v_mov_b32_e32 v4, v1
.LBB1_9:                                ;   Parent Loop BB1_7 Depth=1
                                        ; =>  This Loop Header: Depth=2
                                        ;       Child Loop BB1_10 Depth 3
	v_mov_b32_e32 v5, v4
	s_mov_b32 s19, s3
.LBB1_10:                               ;   Parent Loop BB1_7 Depth=1
                                        ;     Parent Loop BB1_9 Depth=2
                                        ; =>    This Inner Loop Header: Depth=3
	v_add_u32_e32 v6, s16, v5
	ds_read_b32 v7, v5
	ds_read_b32 v8, v6
	s_add_i32 s19, s19, -1
	s_cmp_eq_u32 s19, 0
	s_waitcnt lgkmcnt(0)
	v_add_f32_e32 v9, v7, v8
	v_sub_f32_e32 v7, v7, v8
	ds_write_b32 v5, v9
	ds_write_b32 v6, v7
	v_add_u32_e32 v5, 4, v5
	s_cbranch_scc0 .LBB1_10
; %bb.11:                               ;   in Loop: Header=BB1_9 Depth=2
	s_add_i32 s18, s18, s15
	s_cmp_ge_u32 s18, s11
	v_add_u32_e32 v4, s17, v4
	s_cbranch_scc0 .LBB1_9
	s_branch .LBB1_6
.LBB1_12:
	s_load_dwordx2 s[4:5], s[4:5], 0x10
	s_and_b64 vcc, exec, s[0:1]
	v_mov_b32_e32 v4, 0
	s_cbranch_vccnz .LBB1_19
; %bb.13:
	s_mul_i32 s2, s11, s10
	v_cvt_f32_u32_e32 v4, s2
	s_mov_b32 s2, 0xf800000
	v_mul_f32_e32 v5, 0x4f800000, v4
	v_cmp_gt_f32_e32 vcc, s2, v4
	v_cndmask_b32_e32 v4, v4, v5, vcc
	v_sqrt_f32_e32 v5, v4
	v_add_u32_e32 v6, -1, v5
	v_add_u32_e32 v7, 1, v5
	v_fma_f32 v8, -v6, v5, v4
	v_fma_f32 v9, -v7, v5, v4
	v_cmp_ge_f32_e64 s[2:3], 0, v8
	v_cndmask_b32_e64 v5, v5, v6, s[2:3]
	v_cmp_lt_f32_e64 s[2:3], 0, v9
	v_cndmask_b32_e64 v5, v5, v7, s[2:3]
	v_mul_f32_e32 v6, 0x37800000, v5
	v_cndmask_b32_e32 v5, v5, v6, vcc
	v_mov_b32_e32 v6, 0x260
	v_cmp_class_f32_e32 vcc, v4, v6
	v_cndmask_b32_e32 v4, v5, v4, vcc
	v_mul_f32_e32 v5, s9, v4
	v_mov_b32_e32 v6, 0
	v_mov_b32_e32 v7, v1
	s_mov_b32 s9, s11
	v_mov_b32_e32 v4, 0
	s_branch .LBB1_15
.LBB1_14:                               ;   in Loop: Header=BB1_15 Depth=1
	s_or_b64 exec, exec, s[2:3]
	s_add_i32 s9, s9, -1
	s_cmp_eq_u32 s9, 0
	v_add_u32_e32 v7, 4, v7
	s_cbranch_scc1 .LBB1_19
.LBB1_15:                               ; =>This Inner Loop Header: Depth=1
	ds_read_b32 v8, v7
	s_waitcnt lgkmcnt(0)
	v_cmp_nlt_f32_e64 s[2:3], |v8|, v5
	s_and_saveexec_b64 s[16:17], s[2:3]
	s_xor_b64 s[2:3], exec, s[16:17]
; %bb.16:                               ;   in Loop: Header=BB1_15 Depth=1
	v_add_u32_e32 v4, 1, v4
; %bb.17:                               ;   in Loop: Header=BB1_15 Depth=1
	s_andn2_saveexec_b64 s[2:3], s[2:3]
	s_cbranch_execz .LBB1_14
; %bb.18:                               ;   in Loop: Header=BB1_15 Depth=1
	ds_write_b32 v7, v6
	s_branch .LBB1_14
.LBB1_19:
	s_andn2_b64 vcc, exec, s[12:13]
	s_cbranch_vccnz .LBB1_27
; %bb.20:
	s_mov_b32 s2, 0
	s_branch .LBB1_22
.LBB1_21:                               ;   in Loop: Header=BB1_22 Depth=1
	s_add_i32 s2, s2, 1
	s_cmp_eq_u32 s2, s14
	s_cbranch_scc1 .LBB1_27
.LBB1_22:                               ; =>This Loop Header: Depth=1
                                        ;     Child Loop BB1_24 Depth 2
                                        ;       Child Loop BB1_25 Depth 3
	s_and_b64 vcc, exec, s[0:1]
	s_cbranch_vccnz .LBB1_21
; %bb.23:                               ;   in Loop: Header=BB1_22 Depth=1
	s_lshl_b32 s3, 1, s2
	s_lshl_b32 s9, 2, s2
	;; [unrolled: 1-line block ×4, first 2 shown]
	s_mov_b32 s13, 0
	v_mov_b32_e32 v5, v1
.LBB1_24:                               ;   Parent Loop BB1_22 Depth=1
                                        ; =>  This Loop Header: Depth=2
                                        ;       Child Loop BB1_25 Depth 3
	v_mov_b32_e32 v6, v5
	s_mov_b32 s15, s3
.LBB1_25:                               ;   Parent Loop BB1_22 Depth=1
                                        ;     Parent Loop BB1_24 Depth=2
                                        ; =>    This Inner Loop Header: Depth=3
	v_add_u32_e32 v7, s10, v6
	ds_read_b32 v8, v6
	ds_read_b32 v9, v7
	s_add_i32 s15, s15, -1
	s_cmp_eq_u32 s15, 0
	s_waitcnt lgkmcnt(0)
	v_add_f32_e32 v10, v8, v9
	v_sub_f32_e32 v8, v8, v9
	ds_write_b32 v6, v10
	ds_write_b32 v7, v8
	v_add_u32_e32 v6, 4, v6
	s_cbranch_scc0 .LBB1_25
; %bb.26:                               ;   in Loop: Header=BB1_24 Depth=2
	s_add_i32 s13, s13, s9
	s_cmp_ge_u32 s13, s11
	v_add_u32_e32 v5, s12, v5
	s_cbranch_scc0 .LBB1_24
	s_branch .LBB1_21
.LBB1_27:
	s_and_b64 vcc, exec, s[0:1]
	s_cbranch_vccnz .LBB1_30
; %bb.28:
	v_cvt_f32_u32_e32 v5, s11
	s_mov_b32 s1, 0
	s_mov_b32 s0, s1
.LBB1_29:                               ; =>This Inner Loop Header: Depth=1
	ds_read_b32 v8, v1
	s_add_i32 s11, s11, -1
	v_add_u32_e32 v1, 4, v1
	s_waitcnt lgkmcnt(0)
	v_div_scale_f32 v6, s[2:3], v5, v5, v8
	v_div_scale_f32 v7, vcc, v8, v5, v8
	s_lshl_b64 s[2:3], s[0:1], 2
	s_add_i32 s0, s0, s8
	s_cmp_eq_u32 s11, 0
	v_rcp_f32_e32 v9, v6
	v_fma_f32 v10, -v6, v9, 1.0
	v_fmac_f32_e32 v9, v10, v9
	v_mul_f32_e32 v10, v7, v9
	v_fma_f32 v11, -v6, v10, v7
	v_fmac_f32_e32 v10, v11, v9
	v_fma_f32 v6, -v6, v10, v7
	v_div_fmas_f32 v9, v6, v9, v10
	v_mov_b32_e32 v7, s3
	v_add_co_u32_e32 v6, vcc, s2, v2
	v_addc_co_u32_e32 v7, vcc, v3, v7, vcc
	v_div_fixup_f32 v8, v9, v5, v8
	global_store_dword v[6:7], v8, off
	s_cbranch_scc0 .LBB1_29
.LBB1_30:
	v_mbcnt_lo_u32_b32 v1, -1, 0
	v_mbcnt_hi_u32_b32 v5, -1, v1
	v_and_b32_e32 v6, 63, v5
	v_cmp_gt_u32_e32 vcc, 48, v6
	v_cndmask_b32_e64 v1, 0, 16, vcc
	v_add_lshl_u32 v1, v1, v5, 2
	ds_bpermute_b32 v3, v1, v4
	v_cmp_gt_u32_e32 vcc, 56, v6
	v_cndmask_b32_e64 v2, 0, 8, vcc
	v_add_lshl_u32 v2, v2, v5, 2
	v_cmp_gt_u32_e32 vcc, 60, v6
	s_waitcnt lgkmcnt(0)
	v_add_u32_e32 v4, v3, v4
	ds_bpermute_b32 v7, v2, v4
	v_cndmask_b32_e64 v3, 0, 4, vcc
	v_add_lshl_u32 v3, v3, v5, 2
	v_cmp_gt_u32_e32 vcc, 62, v6
	s_waitcnt lgkmcnt(0)
	v_add_u32_e32 v7, v7, v4
	ds_bpermute_b32 v8, v3, v7
	v_cndmask_b32_e64 v4, 0, 2, vcc
	v_add_lshl_u32 v4, v4, v5, 2
	v_cmp_ne_u32_e32 vcc, 63, v6
	v_addc_co_u32_e32 v5, vcc, 0, v5, vcc
	s_waitcnt lgkmcnt(0)
	v_add_u32_e32 v7, v8, v7
	ds_bpermute_b32 v8, v4, v7
	v_lshlrev_b32_e32 v5, 2, v5
	s_waitcnt vmcnt(0) lgkmcnt(0)
	s_barrier
	v_add_u32_e32 v6, v8, v7
	ds_bpermute_b32 v8, v5, v6
	v_and_b32_e32 v7, 31, v0
	v_cmp_eq_u32_e32 vcc, 0, v7
	s_and_saveexec_b64 s[0:1], vcc
	s_cbranch_execz .LBB1_32
; %bb.31:
	s_waitcnt lgkmcnt(0)
	v_add_u32_e32 v6, v8, v6
	v_lshrrev_b32_e32 v8, 3, v0
	v_add_u32_e32 v8, 0, v8
	ds_write_b32 v8, v6
.LBB1_32:
	s_or_b64 exec, exec, s[0:1]
	s_ashr_i32 s0, s8, 31
	s_lshr_b32 s0, s0, 27
	s_add_i32 s8, s8, s0
	s_ashr_i32 s0, s8, 5
	v_cmp_gt_i32_e32 vcc, s0, v0
	v_mov_b32_e32 v6, 0
	s_waitcnt lgkmcnt(0)
	s_barrier
	s_and_saveexec_b64 s[0:1], vcc
	s_cbranch_execnz .LBB1_37
; %bb.33:
	s_or_b64 exec, exec, s[0:1]
	v_cmp_gt_u32_e32 vcc, 32, v0
	s_and_saveexec_b64 s[0:1], vcc
	s_cbranch_execnz .LBB1_38
.LBB1_34:
	s_or_b64 exec, exec, s[0:1]
	v_cmp_eq_u32_e32 vcc, 0, v0
	s_and_saveexec_b64 s[0:1], vcc
	s_cbranch_execz .LBB1_36
.LBB1_35:
	s_waitcnt lgkmcnt(0)
	v_cvt_f32_u32_e32 v0, v6
	v_cvt_u32_f32_e32 v0, v0
	v_max_u32_e32 v0, 1, v0
	v_cvt_f32_u32_e32 v0, v0
	v_div_scale_f32 v1, s[0:1], v0, v0, 1.0
	v_div_scale_f32 v2, vcc, 1.0, v0, 1.0
	s_add_u32 s0, s4, s6
	s_addc_u32 s1, s5, s7
	v_rcp_f32_e32 v3, v1
	v_fma_f32 v4, -v1, v3, 1.0
	v_fmac_f32_e32 v3, v4, v3
	v_mul_f32_e32 v4, v2, v3
	v_fma_f32 v5, -v1, v4, v2
	v_fmac_f32_e32 v4, v5, v3
	v_fma_f32 v1, -v1, v4, v2
	v_div_fmas_f32 v1, v1, v3, v4
	v_div_fixup_f32 v0, v1, v0, 1.0
	v_mov_b32_e32 v1, 0
	global_store_dword v1, v0, s[0:1]
.LBB1_36:
	s_endpgm
.LBB1_37:
	v_lshl_add_u32 v6, v7, 2, 0
	ds_read_b32 v6, v6
	s_or_b64 exec, exec, s[0:1]
	v_cmp_gt_u32_e32 vcc, 32, v0
	s_and_saveexec_b64 s[0:1], vcc
	s_cbranch_execz .LBB1_34
.LBB1_38:
	s_waitcnt lgkmcnt(0)
	ds_bpermute_b32 v1, v1, v6
	s_waitcnt lgkmcnt(0)
	v_add_u32_e32 v1, v1, v6
	ds_bpermute_b32 v2, v2, v1
	s_waitcnt lgkmcnt(0)
	v_add_u32_e32 v1, v2, v1
	;; [unrolled: 3-line block ×5, first 2 shown]
	s_or_b64 exec, exec, s[0:1]
	v_cmp_eq_u32_e32 vcc, 0, v0
	s_and_saveexec_b64 s[0:1], vcc
	s_cbranch_execnz .LBB1_35
	s_branch .LBB1_36
	.section	.rodata,"a",@progbits
	.p2align	6, 0x0
	.amdhsa_kernel _Z19hard_treshold_block15HIP_vector_typeIjLj2EEPfS1_PKjS0_6Paramsj
		.amdhsa_group_segment_fixed_size 0
		.amdhsa_private_segment_fixed_size 0
		.amdhsa_kernarg_size 328
		.amdhsa_user_sgpr_count 6
		.amdhsa_user_sgpr_private_segment_buffer 1
		.amdhsa_user_sgpr_dispatch_ptr 0
		.amdhsa_user_sgpr_queue_ptr 0
		.amdhsa_user_sgpr_kernarg_segment_ptr 1
		.amdhsa_user_sgpr_dispatch_id 0
		.amdhsa_user_sgpr_flat_scratch_init 0
		.amdhsa_user_sgpr_private_segment_size 0
		.amdhsa_uses_dynamic_stack 0
		.amdhsa_system_sgpr_private_segment_wavefront_offset 0
		.amdhsa_system_sgpr_workgroup_id_x 1
		.amdhsa_system_sgpr_workgroup_id_y 1
		.amdhsa_system_sgpr_workgroup_id_z 0
		.amdhsa_system_sgpr_workgroup_info 0
		.amdhsa_system_vgpr_workitem_id 1
		.amdhsa_next_free_vgpr 12
		.amdhsa_next_free_sgpr 20
		.amdhsa_reserve_vcc 1
		.amdhsa_reserve_flat_scratch 0
		.amdhsa_float_round_mode_32 0
		.amdhsa_float_round_mode_16_64 0
		.amdhsa_float_denorm_mode_32 3
		.amdhsa_float_denorm_mode_16_64 3
		.amdhsa_dx10_clamp 1
		.amdhsa_ieee_mode 1
		.amdhsa_fp16_overflow 0
		.amdhsa_exception_fp_ieee_invalid_op 0
		.amdhsa_exception_fp_denorm_src 0
		.amdhsa_exception_fp_ieee_div_zero 0
		.amdhsa_exception_fp_ieee_overflow 0
		.amdhsa_exception_fp_ieee_underflow 0
		.amdhsa_exception_fp_ieee_inexact 0
		.amdhsa_exception_int_div_zero 0
	.end_amdhsa_kernel
	.text
.Lfunc_end1:
	.size	_Z19hard_treshold_block15HIP_vector_typeIjLj2EEPfS1_PKjS0_6Paramsj, .Lfunc_end1-_Z19hard_treshold_block15HIP_vector_typeIjLj2EEPfS1_PKjS0_6Paramsj
                                        ; -- End function
	.set _Z19hard_treshold_block15HIP_vector_typeIjLj2EEPfS1_PKjS0_6Paramsj.num_vgpr, 12
	.set _Z19hard_treshold_block15HIP_vector_typeIjLj2EEPfS1_PKjS0_6Paramsj.num_agpr, 0
	.set _Z19hard_treshold_block15HIP_vector_typeIjLj2EEPfS1_PKjS0_6Paramsj.numbered_sgpr, 20
	.set _Z19hard_treshold_block15HIP_vector_typeIjLj2EEPfS1_PKjS0_6Paramsj.num_named_barrier, 0
	.set _Z19hard_treshold_block15HIP_vector_typeIjLj2EEPfS1_PKjS0_6Paramsj.private_seg_size, 0
	.set _Z19hard_treshold_block15HIP_vector_typeIjLj2EEPfS1_PKjS0_6Paramsj.uses_vcc, 1
	.set _Z19hard_treshold_block15HIP_vector_typeIjLj2EEPfS1_PKjS0_6Paramsj.uses_flat_scratch, 0
	.set _Z19hard_treshold_block15HIP_vector_typeIjLj2EEPfS1_PKjS0_6Paramsj.has_dyn_sized_stack, 0
	.set _Z19hard_treshold_block15HIP_vector_typeIjLj2EEPfS1_PKjS0_6Paramsj.has_recursion, 0
	.set _Z19hard_treshold_block15HIP_vector_typeIjLj2EEPfS1_PKjS0_6Paramsj.has_indirect_call, 0
	.section	.AMDGPU.csdata,"",@progbits
; Kernel info:
; codeLenInByte = 1656
; TotalNumSgprs: 24
; NumVgprs: 12
; ScratchSize: 0
; MemoryBound: 0
; FloatMode: 240
; IeeeMode: 1
; LDSByteSize: 0 bytes/workgroup (compile time only)
; SGPRBlocks: 2
; VGPRBlocks: 2
; NumSGPRsForWavesPerEU: 24
; NumVGPRsForWavesPerEU: 12
; Occupancy: 10
; WaveLimiterHint : 0
; COMPUTE_PGM_RSRC2:SCRATCH_EN: 0
; COMPUTE_PGM_RSRC2:USER_SGPR: 6
; COMPUTE_PGM_RSRC2:TRAP_HANDLER: 0
; COMPUTE_PGM_RSRC2:TGID_X_EN: 1
; COMPUTE_PGM_RSRC2:TGID_Y_EN: 1
; COMPUTE_PGM_RSRC2:TGID_Z_EN: 0
; COMPUTE_PGM_RSRC2:TIDIG_COMP_CNT: 1
	.text
	.protected	_Z15aggregate_block15HIP_vector_typeIjLj2EEPKfS2_PKtS2_PfS5_PKjS0_S0_6Params ; -- Begin function _Z15aggregate_block15HIP_vector_typeIjLj2EEPKfS2_PKtS2_PfS5_PKjS0_S0_6Params
	.globl	_Z15aggregate_block15HIP_vector_typeIjLj2EEPKfS2_PKtS2_PfS5_PKjS0_S0_6Params
	.p2align	8
	.type	_Z15aggregate_block15HIP_vector_typeIjLj2EEPKfS2_PKtS2_PfS5_PKjS0_S0_6Params,@function
_Z15aggregate_block15HIP_vector_typeIjLj2EEPKfS2_PKtS2_PfS5_PKjS0_S0_6Params: ; @_Z15aggregate_block15HIP_vector_typeIjLj2EEPKfS2_PKtS2_PfS5_PKjS0_S0_6Params
; %bb.0:
	s_load_dword s8, s[4:5], 0x64
	s_load_dwordx2 s[0:1], s[4:5], 0x0
	s_load_dwordx2 s[2:3], s[4:5], 0x48
	s_waitcnt lgkmcnt(0)
	s_mul_i32 s9, s8, s6
	s_add_i32 s9, s9, s0
	s_mul_i32 s0, s8, s7
	s_add_i32 s0, s0, s1
	s_add_i32 s1, s3, -1
	s_add_i32 s10, s1, s8
	s_cmp_lt_u32 s0, s10
	s_cselect_b32 s1, s1, s0
	s_cmp_lt_u32 s0, s3
	s_cselect_b32 s23, s0, s1
	s_add_i32 s0, s2, -1
	s_add_i32 s1, s0, s8
	s_cmp_lt_u32 s9, s1
	s_cselect_b32 s0, s0, s9
	s_cmp_lt_u32 s9, s2
	s_cselect_b32 s24, s9, s0
	s_cmp_ge_u32 s24, s2
	s_cselect_b64 s[0:1], -1, 0
	s_cmp_ge_u32 s23, s3
	s_cselect_b64 s[2:3], -1, 0
	s_or_b64 s[0:1], s[0:1], s[2:3]
	s_and_b64 vcc, exec, s[0:1]
	s_cbranch_vccnz .LBB2_13
; %bb.1:
	s_load_dword s2, s[4:5], 0x70
	s_load_dwordx2 s[0:1], s[4:5], 0x38
	s_waitcnt lgkmcnt(0)
	s_mul_i32 s2, s2, s7
	s_add_i32 s6, s2, s6
	s_mov_b32 s7, 0
	s_lshl_b64 s[18:19], s[6:7], 2
	s_add_u32 s0, s0, s18
	s_addc_u32 s1, s1, s19
	s_load_dword s20, s[0:1], 0x0
	s_waitcnt lgkmcnt(0)
	s_cmp_eq_u32 s20, -1
	s_cbranch_scc1 .LBB2_13
; %bb.2:
	s_load_dwordx2 s[16:17], s[4:5], 0x54
	s_load_dwordx8 s[8:15], s[4:5], 0x8
	s_load_dwordx4 s[0:3], s[4:5], 0x28
	s_load_dword s21, s[4:5], 0x40
	s_mov_b32 s5, s7
	s_waitcnt lgkmcnt(0)
	v_mad_u64_u32 v[2:3], s[26:27], s16, v1, v[0:1]
	s_mul_i32 s22, s16, s16
	s_add_i32 s4, s17, 1
	v_mov_b32_e32 v3, 0
	s_mul_i32 s4, s22, s4
	v_lshlrev_b64 v[3:4], 2, v[2:3]
	s_mul_i32 s4, s4, s6
	s_lshl_b64 s[4:5], s[4:5], 2
	v_mov_b32_e32 v6, s15
	v_add_co_u32_e32 v5, vcc, s14, v3
	s_add_u32 s8, s8, s4
	v_addc_co_u32_e32 v6, vcc, v6, v4, vcc
	v_add_u32_e32 v1, s23, v1
	v_add_u32_e32 v0, s24, v0
	s_addc_u32 s7, s9, s5
	global_load_dword v11, v[5:6], off
	v_mad_u64_u32 v[5:6], s[4:5], v1, s21, v[0:1]
	v_mov_b32_e32 v7, s7
	v_add_co_u32_e32 v3, vcc, s8, v3
	v_addc_co_u32_e32 v4, vcc, v7, v4, vcc
	v_ashrrev_i32_e32 v6, 31, v5
	global_load_dword v7, v[3:4], off
	v_lshlrev_b64 v[3:4], 2, v[5:6]
	v_mov_b32_e32 v6, s1
	v_add_co_u32_e32 v5, vcc, s0, v3
	v_addc_co_u32_e32 v6, vcc, v6, v4, vcc
	global_load_dword v8, v[5:6], off
	s_add_u32 s4, s10, s18
	s_addc_u32 s5, s11, s19
	s_load_dword s9, s[4:5], 0x0
	s_mov_b64 s[4:5], 0
	s_waitcnt vmcnt(1)
	v_mul_f32_e32 v7, v11, v7
	s_waitcnt lgkmcnt(0)
	v_mul_f32_e32 v9, s9, v7
.LBB2_3:                                ; =>This Inner Loop Header: Depth=1
	s_waitcnt vmcnt(0)
	v_add_f32_e32 v7, v8, v9
	global_atomic_cmpswap v7, v[5:6], v[7:8], off glc
	s_waitcnt vmcnt(0)
	v_cmp_eq_u32_e32 vcc, v7, v8
	s_or_b64 s[4:5], vcc, s[4:5]
	v_mov_b32_e32 v8, v7
	s_andn2_b64 exec, exec, s[4:5]
	s_cbranch_execnz .LBB2_3
; %bb.4:
	s_or_b64 exec, exec, s[4:5]
	v_mov_b32_e32 v5, s3
	v_add_co_u32_e32 v3, vcc, s2, v3
	v_addc_co_u32_e32 v4, vcc, v5, v4, vcc
	global_load_dword v6, v[3:4], off
	v_mul_f32_e32 v12, s9, v11
	s_mov_b64 s[4:5], 0
.LBB2_5:                                ; =>This Inner Loop Header: Depth=1
	s_waitcnt vmcnt(0)
	v_add_f32_e32 v5, v6, v12
	global_atomic_cmpswap v5, v[3:4], v[5:6], off glc
	s_waitcnt vmcnt(0)
	v_cmp_eq_u32_e32 vcc, v5, v6
	s_or_b64 s[4:5], vcc, s[4:5]
	v_mov_b32_e32 v6, v5
	s_andn2_b64 exec, exec, s[4:5]
	s_cbranch_execnz .LBB2_5
; %bb.6:
	s_or_b64 exec, exec, s[4:5]
	s_cmp_eq_u32 s20, 0
	s_mov_b32 s5, 0
	s_cbranch_scc1 .LBB2_13
; %bb.7:
	s_mul_i32 s4, s6, s17
	s_lshl_b64 s[14:15], s[4:5], 1
	s_add_u32 s11, s12, s14
	s_mov_b32 s10, 1
	s_addc_u32 s12, s13, s15
	v_mov_b32_e32 v4, 0
	v_mov_b32_e32 v13, s7
	;; [unrolled: 1-line block ×4, first 2 shown]
.LBB2_8:                                ; =>This Loop Header: Depth=1
                                        ;     Child Loop BB2_9 Depth 2
                                        ;     Child Loop BB2_11 Depth 2
	s_add_i32 s4, s10, -1
	s_lshl_b64 s[6:7], s[4:5], 1
	s_add_u32 s6, s11, s6
	s_addc_u32 s7, s12, s7
	global_load_ushort v7, v4, s[6:7]
	s_mul_i32 s1, s22, s10
	v_add_u32_e32 v3, s1, v2
	v_lshlrev_b64 v[5:6], 2, v[3:4]
	s_mov_b64 s[6:7], 0
	v_add_co_u32_e32 v5, vcc, s8, v5
	v_addc_co_u32_e32 v6, vcc, v13, v6, vcc
	global_load_dword v9, v[5:6], off
	s_waitcnt vmcnt(1)
	v_add_u32_sdwa v3, v1, sext(v7) dst_sel:DWORD dst_unused:UNUSED_PAD src0_sel:DWORD src1_sel:BYTE_1
	v_mul_lo_u32 v3, v3, s21
	v_bfe_i32 v5, v7, 0, 8
	v_add3_u32 v5, v0, v5, v3
	v_ashrrev_i32_e32 v6, 31, v5
	v_lshlrev_b64 v[5:6], 2, v[5:6]
	s_waitcnt vmcnt(0)
	v_mul_f32_e32 v3, v11, v9
	v_add_co_u32_e32 v7, vcc, s0, v5
	v_addc_co_u32_e32 v8, vcc, v14, v6, vcc
	global_load_dword v10, v[7:8], off
	v_mul_f32_e32 v3, s9, v3
.LBB2_9:                                ;   Parent Loop BB2_8 Depth=1
                                        ; =>  This Inner Loop Header: Depth=2
	s_waitcnt vmcnt(0)
	v_add_f32_e32 v9, v10, v3
	global_atomic_cmpswap v9, v[7:8], v[9:10], off glc
	s_waitcnt vmcnt(0)
	v_cmp_eq_u32_e32 vcc, v9, v10
	s_or_b64 s[6:7], vcc, s[6:7]
	v_mov_b32_e32 v10, v9
	s_andn2_b64 exec, exec, s[6:7]
	s_cbranch_execnz .LBB2_9
; %bb.10:                               ;   in Loop: Header=BB2_8 Depth=1
	s_or_b64 exec, exec, s[6:7]
	v_add_co_u32_e32 v5, vcc, s2, v5
	v_addc_co_u32_e32 v6, vcc, v15, v6, vcc
	global_load_dword v8, v[5:6], off
	s_mov_b64 s[6:7], 0
.LBB2_11:                               ;   Parent Loop BB2_8 Depth=1
                                        ; =>  This Inner Loop Header: Depth=2
	s_waitcnt vmcnt(0)
	v_add_f32_e32 v7, v8, v12
	global_atomic_cmpswap v3, v[5:6], v[7:8], off glc
	s_waitcnt vmcnt(0)
	v_cmp_eq_u32_e32 vcc, v3, v8
	s_or_b64 s[6:7], vcc, s[6:7]
	v_mov_b32_e32 v8, v3
	s_andn2_b64 exec, exec, s[6:7]
	s_cbranch_execnz .LBB2_11
; %bb.12:                               ;   in Loop: Header=BB2_8 Depth=1
	s_or_b64 exec, exec, s[6:7]
	s_add_i32 s1, s10, 1
	s_cmp_lg_u32 s10, s20
	s_mov_b32 s10, s1
	s_cbranch_scc1 .LBB2_8
.LBB2_13:
	s_endpgm
	.section	.rodata,"a",@progbits
	.p2align	6, 0x0
	.amdhsa_kernel _Z15aggregate_block15HIP_vector_typeIjLj2EEPKfS2_PKtS2_PfS5_PKjS0_S0_6Params
		.amdhsa_group_segment_fixed_size 0
		.amdhsa_private_segment_fixed_size 0
		.amdhsa_kernarg_size 368
		.amdhsa_user_sgpr_count 6
		.amdhsa_user_sgpr_private_segment_buffer 1
		.amdhsa_user_sgpr_dispatch_ptr 0
		.amdhsa_user_sgpr_queue_ptr 0
		.amdhsa_user_sgpr_kernarg_segment_ptr 1
		.amdhsa_user_sgpr_dispatch_id 0
		.amdhsa_user_sgpr_flat_scratch_init 0
		.amdhsa_user_sgpr_private_segment_size 0
		.amdhsa_uses_dynamic_stack 0
		.amdhsa_system_sgpr_private_segment_wavefront_offset 0
		.amdhsa_system_sgpr_workgroup_id_x 1
		.amdhsa_system_sgpr_workgroup_id_y 1
		.amdhsa_system_sgpr_workgroup_id_z 0
		.amdhsa_system_sgpr_workgroup_info 0
		.amdhsa_system_vgpr_workitem_id 1
		.amdhsa_next_free_vgpr 16
		.amdhsa_next_free_sgpr 28
		.amdhsa_reserve_vcc 1
		.amdhsa_reserve_flat_scratch 0
		.amdhsa_float_round_mode_32 0
		.amdhsa_float_round_mode_16_64 0
		.amdhsa_float_denorm_mode_32 3
		.amdhsa_float_denorm_mode_16_64 3
		.amdhsa_dx10_clamp 1
		.amdhsa_ieee_mode 1
		.amdhsa_fp16_overflow 0
		.amdhsa_exception_fp_ieee_invalid_op 0
		.amdhsa_exception_fp_denorm_src 0
		.amdhsa_exception_fp_ieee_div_zero 0
		.amdhsa_exception_fp_ieee_overflow 0
		.amdhsa_exception_fp_ieee_underflow 0
		.amdhsa_exception_fp_ieee_inexact 0
		.amdhsa_exception_int_div_zero 0
	.end_amdhsa_kernel
	.text
.Lfunc_end2:
	.size	_Z15aggregate_block15HIP_vector_typeIjLj2EEPKfS2_PKtS2_PfS5_PKjS0_S0_6Params, .Lfunc_end2-_Z15aggregate_block15HIP_vector_typeIjLj2EEPKfS2_PKtS2_PfS5_PKjS0_S0_6Params
                                        ; -- End function
	.set _Z15aggregate_block15HIP_vector_typeIjLj2EEPKfS2_PKtS2_PfS5_PKjS0_S0_6Params.num_vgpr, 16
	.set _Z15aggregate_block15HIP_vector_typeIjLj2EEPKfS2_PKtS2_PfS5_PKjS0_S0_6Params.num_agpr, 0
	.set _Z15aggregate_block15HIP_vector_typeIjLj2EEPKfS2_PKtS2_PfS5_PKjS0_S0_6Params.numbered_sgpr, 28
	.set _Z15aggregate_block15HIP_vector_typeIjLj2EEPKfS2_PKtS2_PfS5_PKjS0_S0_6Params.num_named_barrier, 0
	.set _Z15aggregate_block15HIP_vector_typeIjLj2EEPKfS2_PKtS2_PfS5_PKjS0_S0_6Params.private_seg_size, 0
	.set _Z15aggregate_block15HIP_vector_typeIjLj2EEPKfS2_PKtS2_PfS5_PKjS0_S0_6Params.uses_vcc, 1
	.set _Z15aggregate_block15HIP_vector_typeIjLj2EEPKfS2_PKtS2_PfS5_PKjS0_S0_6Params.uses_flat_scratch, 0
	.set _Z15aggregate_block15HIP_vector_typeIjLj2EEPKfS2_PKtS2_PfS5_PKjS0_S0_6Params.has_dyn_sized_stack, 0
	.set _Z15aggregate_block15HIP_vector_typeIjLj2EEPKfS2_PKtS2_PfS5_PKjS0_S0_6Params.has_recursion, 0
	.set _Z15aggregate_block15HIP_vector_typeIjLj2EEPKfS2_PKtS2_PfS5_PKjS0_S0_6Params.has_indirect_call, 0
	.section	.AMDGPU.csdata,"",@progbits
; Kernel info:
; codeLenInByte = 824
; TotalNumSgprs: 32
; NumVgprs: 16
; ScratchSize: 0
; MemoryBound: 0
; FloatMode: 240
; IeeeMode: 1
; LDSByteSize: 0 bytes/workgroup (compile time only)
; SGPRBlocks: 3
; VGPRBlocks: 3
; NumSGPRsForWavesPerEU: 32
; NumVGPRsForWavesPerEU: 16
; Occupancy: 10
; WaveLimiterHint : 1
; COMPUTE_PGM_RSRC2:SCRATCH_EN: 0
; COMPUTE_PGM_RSRC2:USER_SGPR: 6
; COMPUTE_PGM_RSRC2:TRAP_HANDLER: 0
; COMPUTE_PGM_RSRC2:TGID_X_EN: 1
; COMPUTE_PGM_RSRC2:TGID_Y_EN: 1
; COMPUTE_PGM_RSRC2:TGID_Z_EN: 0
; COMPUTE_PGM_RSRC2:TIDIG_COMP_CNT: 1
	.text
	.protected	_Z15aggregate_finalPKfS0_15HIP_vector_typeIjLj2EEPh ; -- Begin function _Z15aggregate_finalPKfS0_15HIP_vector_typeIjLj2EEPh
	.globl	_Z15aggregate_finalPKfS0_15HIP_vector_typeIjLj2EEPh
	.p2align	8
	.type	_Z15aggregate_finalPKfS0_15HIP_vector_typeIjLj2EEPh,@function
_Z15aggregate_finalPKfS0_15HIP_vector_typeIjLj2EEPh: ; @_Z15aggregate_finalPKfS0_15HIP_vector_typeIjLj2EEPh
; %bb.0:
	s_load_dword s0, s[4:5], 0x2c
	s_load_dwordx2 s[2:3], s[4:5], 0x10
	s_waitcnt lgkmcnt(0)
	s_lshr_b32 s1, s0, 16
	s_and_b32 s0, s0, 0xffff
	s_mul_i32 s6, s6, s0
	s_mul_i32 s7, s7, s1
	v_add_u32_e32 v0, s6, v0
	v_add_u32_e32 v1, s7, v1
	v_cmp_gt_u32_e32 vcc, s2, v0
	v_cmp_gt_u32_e64 s[0:1], s3, v1
	s_and_b64 s[0:1], vcc, s[0:1]
	s_and_saveexec_b64 s[6:7], s[0:1]
	s_cbranch_execz .LBB3_2
; %bb.1:
	v_mad_u64_u32 v[0:1], s[0:1], v1, s2, v[0:1]
	s_load_dwordx4 s[0:3], s[4:5], 0x0
	s_load_dwordx2 s[6:7], s[4:5], 0x18
	v_mov_b32_e32 v1, 0
	v_lshlrev_b64 v[1:2], 2, v[0:1]
	s_waitcnt lgkmcnt(0)
	v_mov_b32_e32 v4, s1
	v_add_co_u32_e32 v3, vcc, s0, v1
	v_addc_co_u32_e32 v4, vcc, v4, v2, vcc
	global_load_dword v3, v[3:4], off
	v_mov_b32_e32 v4, s3
	v_add_co_u32_e32 v1, vcc, s2, v1
	v_addc_co_u32_e32 v2, vcc, v4, v2, vcc
	global_load_dword v1, v[1:2], off
	s_waitcnt vmcnt(0)
	v_div_scale_f32 v2, s[0:1], v1, v1, v3
	v_div_scale_f32 v4, vcc, v3, v1, v3
	s_mov_b32 s0, 0x2f800000
	s_mov_b32 s1, 0xcf800000
	v_rcp_f32_e32 v5, v2
	v_fma_f32 v6, -v2, v5, 1.0
	v_fmac_f32_e32 v5, v6, v5
	v_mul_f32_e32 v6, v4, v5
	v_fma_f32 v7, -v2, v6, v4
	v_fmac_f32_e32 v6, v7, v5
	v_fma_f32 v2, -v2, v6, v4
	v_div_fmas_f32 v2, v2, v5, v6
	v_div_fixup_f32 v1, v2, v1, v3
	v_rndne_f32_e32 v1, v1
	v_mul_f32_e64 v2, |v1|, s0
	v_floor_f32_e32 v2, v2
	v_fma_f32 v2, v2, s1, |v1|
	v_cvt_u32_f32_e32 v2, v2
	v_ashrrev_i32_e32 v1, 31, v1
	v_xor_b32_e32 v2, v2, v1
	v_sub_u32_e32 v1, v2, v1
	v_mov_b32_e32 v2, 0xff
	v_med3_i32 v1, v1, 0, v2
	global_store_byte v0, v1, s[6:7]
.LBB3_2:
	s_endpgm
	.section	.rodata,"a",@progbits
	.p2align	6, 0x0
	.amdhsa_kernel _Z15aggregate_finalPKfS0_15HIP_vector_typeIjLj2EEPh
		.amdhsa_group_segment_fixed_size 0
		.amdhsa_private_segment_fixed_size 0
		.amdhsa_kernarg_size 288
		.amdhsa_user_sgpr_count 6
		.amdhsa_user_sgpr_private_segment_buffer 1
		.amdhsa_user_sgpr_dispatch_ptr 0
		.amdhsa_user_sgpr_queue_ptr 0
		.amdhsa_user_sgpr_kernarg_segment_ptr 1
		.amdhsa_user_sgpr_dispatch_id 0
		.amdhsa_user_sgpr_flat_scratch_init 0
		.amdhsa_user_sgpr_private_segment_size 0
		.amdhsa_uses_dynamic_stack 0
		.amdhsa_system_sgpr_private_segment_wavefront_offset 0
		.amdhsa_system_sgpr_workgroup_id_x 1
		.amdhsa_system_sgpr_workgroup_id_y 1
		.amdhsa_system_sgpr_workgroup_id_z 0
		.amdhsa_system_sgpr_workgroup_info 0
		.amdhsa_system_vgpr_workitem_id 1
		.amdhsa_next_free_vgpr 8
		.amdhsa_next_free_sgpr 8
		.amdhsa_reserve_vcc 1
		.amdhsa_reserve_flat_scratch 0
		.amdhsa_float_round_mode_32 0
		.amdhsa_float_round_mode_16_64 0
		.amdhsa_float_denorm_mode_32 3
		.amdhsa_float_denorm_mode_16_64 3
		.amdhsa_dx10_clamp 1
		.amdhsa_ieee_mode 1
		.amdhsa_fp16_overflow 0
		.amdhsa_exception_fp_ieee_invalid_op 0
		.amdhsa_exception_fp_denorm_src 0
		.amdhsa_exception_fp_ieee_div_zero 0
		.amdhsa_exception_fp_ieee_overflow 0
		.amdhsa_exception_fp_ieee_underflow 0
		.amdhsa_exception_fp_ieee_inexact 0
		.amdhsa_exception_int_div_zero 0
	.end_amdhsa_kernel
	.text
.Lfunc_end3:
	.size	_Z15aggregate_finalPKfS0_15HIP_vector_typeIjLj2EEPh, .Lfunc_end3-_Z15aggregate_finalPKfS0_15HIP_vector_typeIjLj2EEPh
                                        ; -- End function
	.set _Z15aggregate_finalPKfS0_15HIP_vector_typeIjLj2EEPh.num_vgpr, 8
	.set _Z15aggregate_finalPKfS0_15HIP_vector_typeIjLj2EEPh.num_agpr, 0
	.set _Z15aggregate_finalPKfS0_15HIP_vector_typeIjLj2EEPh.numbered_sgpr, 8
	.set _Z15aggregate_finalPKfS0_15HIP_vector_typeIjLj2EEPh.num_named_barrier, 0
	.set _Z15aggregate_finalPKfS0_15HIP_vector_typeIjLj2EEPh.private_seg_size, 0
	.set _Z15aggregate_finalPKfS0_15HIP_vector_typeIjLj2EEPh.uses_vcc, 1
	.set _Z15aggregate_finalPKfS0_15HIP_vector_typeIjLj2EEPh.uses_flat_scratch, 0
	.set _Z15aggregate_finalPKfS0_15HIP_vector_typeIjLj2EEPh.has_dyn_sized_stack, 0
	.set _Z15aggregate_finalPKfS0_15HIP_vector_typeIjLj2EEPh.has_recursion, 0
	.set _Z15aggregate_finalPKfS0_15HIP_vector_typeIjLj2EEPh.has_indirect_call, 0
	.section	.AMDGPU.csdata,"",@progbits
; Kernel info:
; codeLenInByte = 312
; TotalNumSgprs: 12
; NumVgprs: 8
; ScratchSize: 0
; MemoryBound: 0
; FloatMode: 240
; IeeeMode: 1
; LDSByteSize: 0 bytes/workgroup (compile time only)
; SGPRBlocks: 1
; VGPRBlocks: 1
; NumSGPRsForWavesPerEU: 12
; NumVGPRsForWavesPerEU: 8
; Occupancy: 10
; WaveLimiterHint : 0
; COMPUTE_PGM_RSRC2:SCRATCH_EN: 0
; COMPUTE_PGM_RSRC2:USER_SGPR: 6
; COMPUTE_PGM_RSRC2:TRAP_HANDLER: 0
; COMPUTE_PGM_RSRC2:TGID_X_EN: 1
; COMPUTE_PGM_RSRC2:TGID_Y_EN: 1
; COMPUTE_PGM_RSRC2:TGID_Z_EN: 0
; COMPUTE_PGM_RSRC2:TIDIG_COMP_CNT: 1
	.section	.AMDGPU.gpr_maximums,"",@progbits
	.set amdgpu.max_num_vgpr, 0
	.set amdgpu.max_num_agpr, 0
	.set amdgpu.max_num_sgpr, 0
	.section	.AMDGPU.csdata,"",@progbits
	.type	__hip_cuid_14213d6e57cb836c,@object ; @__hip_cuid_14213d6e57cb836c
	.section	.bss,"aw",@nobits
	.globl	__hip_cuid_14213d6e57cb836c
__hip_cuid_14213d6e57cb836c:
	.byte	0                               ; 0x0
	.size	__hip_cuid_14213d6e57cb836c, 1

	.ident	"AMD clang version 22.0.0git (https://github.com/RadeonOpenCompute/llvm-project roc-7.2.4 26084 f58b06dce1f9c15707c5f808fd002e18c2accf7e)"
	.section	".note.GNU-stack","",@progbits
	.addrsig
	.addrsig_sym __hip_cuid_14213d6e57cb836c
	.amdgpu_metadata
---
amdhsa.kernels:
  - .args:
      - .offset:         0
        .size:           8
        .value_kind:     by_value
      - .actual_access:  read_only
        .address_space:  global
        .offset:         8
        .size:           8
        .value_kind:     global_buffer
      - .actual_access:  read_only
        .address_space:  global
        .offset:         16
        .size:           8
        .value_kind:     global_buffer
      - .actual_access:  read_only
        .address_space:  global
        .offset:         24
        .size:           8
        .value_kind:     global_buffer
      - .actual_access:  write_only
        .address_space:  global
        .offset:         32
        .size:           8
        .value_kind:     global_buffer
      - .offset:         40
        .size:           8
        .value_kind:     by_value
      - .offset:         48
        .size:           8
        .value_kind:     by_value
      - .offset:         56
        .size:           28
        .value_kind:     by_value
      - .offset:         88
        .size:           4
        .value_kind:     hidden_block_count_x
      - .offset:         92
        .size:           4
        .value_kind:     hidden_block_count_y
      - .offset:         96
        .size:           4
        .value_kind:     hidden_block_count_z
      - .offset:         100
        .size:           2
        .value_kind:     hidden_group_size_x
      - .offset:         102
        .size:           2
        .value_kind:     hidden_group_size_y
      - .offset:         104
        .size:           2
        .value_kind:     hidden_group_size_z
      - .offset:         106
        .size:           2
        .value_kind:     hidden_remainder_x
      - .offset:         108
        .size:           2
        .value_kind:     hidden_remainder_y
      - .offset:         110
        .size:           2
        .value_kind:     hidden_remainder_z
      - .offset:         128
        .size:           8
        .value_kind:     hidden_global_offset_x
      - .offset:         136
        .size:           8
        .value_kind:     hidden_global_offset_y
      - .offset:         144
        .size:           8
        .value_kind:     hidden_global_offset_z
      - .offset:         152
        .size:           2
        .value_kind:     hidden_grid_dims
    .group_segment_fixed_size: 0
    .kernarg_segment_align: 8
    .kernarg_segment_size: 344
    .language:       OpenCL C
    .language_version:
      - 2
      - 0
    .max_flat_workgroup_size: 1024
    .name:           _Z9get_block15HIP_vector_typeIjLj2EEPKhPKtPKjPfS0_S0_6Params
    .private_segment_fixed_size: 0
    .sgpr_count:     24
    .sgpr_spill_count: 0
    .symbol:         _Z9get_block15HIP_vector_typeIjLj2EEPKhPKtPKjPfS0_S0_6Params.kd
    .uniform_work_group_size: 1
    .uses_dynamic_stack: false
    .vgpr_count:     9
    .vgpr_spill_count: 0
    .wavefront_size: 64
  - .args:
      - .offset:         0
        .size:           8
        .value_kind:     by_value
      - .address_space:  global
        .offset:         8
        .size:           8
        .value_kind:     global_buffer
      - .actual_access:  write_only
        .address_space:  global
        .offset:         16
        .size:           8
        .value_kind:     global_buffer
      - .actual_access:  read_only
        .address_space:  global
        .offset:         24
        .size:           8
        .value_kind:     global_buffer
      - .offset:         32
        .size:           8
        .value_kind:     by_value
      - .offset:         40
        .size:           28
        .value_kind:     by_value
      - .offset:         68
        .size:           4
        .value_kind:     by_value
      - .offset:         72
        .size:           4
        .value_kind:     hidden_block_count_x
      - .offset:         76
        .size:           4
        .value_kind:     hidden_block_count_y
      - .offset:         80
        .size:           4
        .value_kind:     hidden_block_count_z
      - .offset:         84
        .size:           2
        .value_kind:     hidden_group_size_x
      - .offset:         86
        .size:           2
        .value_kind:     hidden_group_size_y
      - .offset:         88
        .size:           2
        .value_kind:     hidden_group_size_z
      - .offset:         90
        .size:           2
        .value_kind:     hidden_remainder_x
      - .offset:         92
        .size:           2
        .value_kind:     hidden_remainder_y
      - .offset:         94
        .size:           2
        .value_kind:     hidden_remainder_z
      - .offset:         112
        .size:           8
        .value_kind:     hidden_global_offset_x
      - .offset:         120
        .size:           8
        .value_kind:     hidden_global_offset_y
      - .offset:         128
        .size:           8
        .value_kind:     hidden_global_offset_z
      - .offset:         136
        .size:           2
        .value_kind:     hidden_grid_dims
      - .offset:         192
        .size:           4
        .value_kind:     hidden_dynamic_lds_size
    .group_segment_fixed_size: 0
    .kernarg_segment_align: 8
    .kernarg_segment_size: 328
    .language:       OpenCL C
    .language_version:
      - 2
      - 0
    .max_flat_workgroup_size: 1024
    .name:           _Z19hard_treshold_block15HIP_vector_typeIjLj2EEPfS1_PKjS0_6Paramsj
    .private_segment_fixed_size: 0
    .sgpr_count:     24
    .sgpr_spill_count: 0
    .symbol:         _Z19hard_treshold_block15HIP_vector_typeIjLj2EEPfS1_PKjS0_6Paramsj.kd
    .uniform_work_group_size: 1
    .uses_dynamic_stack: false
    .vgpr_count:     12
    .vgpr_spill_count: 0
    .wavefront_size: 64
  - .args:
      - .offset:         0
        .size:           8
        .value_kind:     by_value
      - .actual_access:  read_only
        .address_space:  global
        .offset:         8
        .size:           8
        .value_kind:     global_buffer
      - .actual_access:  read_only
        .address_space:  global
        .offset:         16
        .size:           8
        .value_kind:     global_buffer
      - .actual_access:  read_only
        .address_space:  global
        .offset:         24
        .size:           8
        .value_kind:     global_buffer
      - .actual_access:  read_only
        .address_space:  global
        .offset:         32
        .size:           8
        .value_kind:     global_buffer
      - .address_space:  global
        .offset:         40
        .size:           8
        .value_kind:     global_buffer
      - .address_space:  global
        .offset:         48
        .size:           8
        .value_kind:     global_buffer
      - .actual_access:  read_only
        .address_space:  global
        .offset:         56
        .size:           8
        .value_kind:     global_buffer
      - .offset:         64
        .size:           8
        .value_kind:     by_value
      - .offset:         72
        .size:           8
        .value_kind:     by_value
      - .offset:         80
        .size:           28
        .value_kind:     by_value
      - .offset:         112
        .size:           4
        .value_kind:     hidden_block_count_x
      - .offset:         116
        .size:           4
        .value_kind:     hidden_block_count_y
      - .offset:         120
        .size:           4
        .value_kind:     hidden_block_count_z
      - .offset:         124
        .size:           2
        .value_kind:     hidden_group_size_x
      - .offset:         126
        .size:           2
        .value_kind:     hidden_group_size_y
      - .offset:         128
        .size:           2
        .value_kind:     hidden_group_size_z
      - .offset:         130
        .size:           2
        .value_kind:     hidden_remainder_x
      - .offset:         132
        .size:           2
        .value_kind:     hidden_remainder_y
      - .offset:         134
        .size:           2
        .value_kind:     hidden_remainder_z
      - .offset:         152
        .size:           8
        .value_kind:     hidden_global_offset_x
      - .offset:         160
        .size:           8
        .value_kind:     hidden_global_offset_y
      - .offset:         168
        .size:           8
        .value_kind:     hidden_global_offset_z
      - .offset:         176
        .size:           2
        .value_kind:     hidden_grid_dims
    .group_segment_fixed_size: 0
    .kernarg_segment_align: 8
    .kernarg_segment_size: 368
    .language:       OpenCL C
    .language_version:
      - 2
      - 0
    .max_flat_workgroup_size: 1024
    .name:           _Z15aggregate_block15HIP_vector_typeIjLj2EEPKfS2_PKtS2_PfS5_PKjS0_S0_6Params
    .private_segment_fixed_size: 0
    .sgpr_count:     32
    .sgpr_spill_count: 0
    .symbol:         _Z15aggregate_block15HIP_vector_typeIjLj2EEPKfS2_PKtS2_PfS5_PKjS0_S0_6Params.kd
    .uniform_work_group_size: 1
    .uses_dynamic_stack: false
    .vgpr_count:     16
    .vgpr_spill_count: 0
    .wavefront_size: 64
  - .args:
      - .actual_access:  read_only
        .address_space:  global
        .offset:         0
        .size:           8
        .value_kind:     global_buffer
      - .actual_access:  read_only
        .address_space:  global
        .offset:         8
        .size:           8
        .value_kind:     global_buffer
      - .offset:         16
        .size:           8
        .value_kind:     by_value
      - .actual_access:  write_only
        .address_space:  global
        .offset:         24
        .size:           8
        .value_kind:     global_buffer
      - .offset:         32
        .size:           4
        .value_kind:     hidden_block_count_x
      - .offset:         36
        .size:           4
        .value_kind:     hidden_block_count_y
      - .offset:         40
        .size:           4
        .value_kind:     hidden_block_count_z
      - .offset:         44
        .size:           2
        .value_kind:     hidden_group_size_x
      - .offset:         46
        .size:           2
        .value_kind:     hidden_group_size_y
      - .offset:         48
        .size:           2
        .value_kind:     hidden_group_size_z
      - .offset:         50
        .size:           2
        .value_kind:     hidden_remainder_x
      - .offset:         52
        .size:           2
        .value_kind:     hidden_remainder_y
      - .offset:         54
        .size:           2
        .value_kind:     hidden_remainder_z
      - .offset:         72
        .size:           8
        .value_kind:     hidden_global_offset_x
      - .offset:         80
        .size:           8
        .value_kind:     hidden_global_offset_y
      - .offset:         88
        .size:           8
        .value_kind:     hidden_global_offset_z
      - .offset:         96
        .size:           2
        .value_kind:     hidden_grid_dims
    .group_segment_fixed_size: 0
    .kernarg_segment_align: 8
    .kernarg_segment_size: 288
    .language:       OpenCL C
    .language_version:
      - 2
      - 0
    .max_flat_workgroup_size: 1024
    .name:           _Z15aggregate_finalPKfS0_15HIP_vector_typeIjLj2EEPh
    .private_segment_fixed_size: 0
    .sgpr_count:     12
    .sgpr_spill_count: 0
    .symbol:         _Z15aggregate_finalPKfS0_15HIP_vector_typeIjLj2EEPh.kd
    .uniform_work_group_size: 1
    .uses_dynamic_stack: false
    .vgpr_count:     8
    .vgpr_spill_count: 0
    .wavefront_size: 64
amdhsa.target:   amdgcn-amd-amdhsa--gfx906
amdhsa.version:
  - 1
  - 2
...

	.end_amdgpu_metadata
